;; amdgpu-corpus repo=zjin-lcf/HeCBench kind=compiled arch=gfx906 opt=O3
	.amdgcn_target "amdgcn-amd-amdhsa--gfx906"
	.amdhsa_code_object_version 6
	.text
	.protected	_Z7softMaxiiPKfPf       ; -- Begin function _Z7softMaxiiPKfPf
	.globl	_Z7softMaxiiPKfPf
	.p2align	8
	.type	_Z7softMaxiiPKfPf,@function
_Z7softMaxiiPKfPf:                      ; @_Z7softMaxiiPKfPf
; %bb.0:
	s_load_dword s0, s[4:5], 0x24
	s_load_dwordx2 s[8:9], s[4:5], 0x0
	s_waitcnt lgkmcnt(0)
	s_and_b32 s0, s0, 0xffff
	s_mul_i32 s6, s6, s0
	v_add_u32_e32 v0, s6, v0
	v_cmp_gt_i32_e32 vcc, s8, v0
	s_and_saveexec_b64 s[0:1], vcc
	s_cbranch_execz .LBB0_8
; %bb.1:
	s_cmp_lt_i32 s9, 1
	s_cbranch_scc1 .LBB0_8
; %bb.2:
	v_mul_lo_u32 v0, v0, s9
	s_load_dwordx4 s[0:3], s[4:5], 0x8
	v_ashrrev_i32_e32 v1, 31, v0
	v_lshlrev_b64 v[2:3], 2, v[0:1]
	s_waitcnt lgkmcnt(0)
	v_mov_b32_e32 v1, s1
	v_add_co_u32_e32 v0, vcc, s0, v2
	v_addc_co_u32_e32 v1, vcc, v1, v3, vcc
	global_load_dword v6, v[0:1], off
	v_mov_b32_e32 v5, v1
	s_mov_b32 s0, s9
	v_mov_b32_e32 v4, v0
.LBB0_3:                                ; =>This Inner Loop Header: Depth=1
	global_load_dword v7, v[4:5], off
	s_waitcnt vmcnt(1)
	v_max_f32_e32 v6, v6, v6
	v_add_co_u32_e32 v4, vcc, 4, v4
	s_add_i32 s0, s0, -1
	v_addc_co_u32_e32 v5, vcc, 0, v5, vcc
	s_cmp_lg_u32 s0, 0
	s_waitcnt vmcnt(0)
	v_max_f32_e32 v7, v7, v7
	v_max_f32_e32 v6, v6, v7
	s_cbranch_scc1 .LBB0_3
; %bb.4:
	v_mov_b32_e32 v5, v1
	v_mov_b32_e32 v7, 0
	s_mov_b32 s0, 0x3fb8aa3b
	s_mov_b32 s1, 0xc2ce8ed0
	;; [unrolled: 1-line block ×3, first 2 shown]
	v_mov_b32_e32 v8, 0x7f800000
	s_mov_b32 s5, s9
	v_mov_b32_e32 v4, v0
.LBB0_5:                                ; =>This Inner Loop Header: Depth=1
	global_load_dword v9, v[4:5], off
	v_add_co_u32_e32 v4, vcc, 4, v4
	v_addc_co_u32_e32 v5, vcc, 0, v5, vcc
	s_add_i32 s5, s5, -1
	s_cmp_lg_u32 s5, 0
	s_waitcnt vmcnt(0)
	v_sub_f32_e32 v9, v9, v6
	v_mul_f32_e32 v10, 0x3fb8aa3b, v9
	v_fma_f32 v11, v9, s0, -v10
	v_rndne_f32_e32 v12, v10
	v_fmac_f32_e32 v11, 0x32a5705f, v9
	v_sub_f32_e32 v10, v10, v12
	v_add_f32_e32 v10, v10, v11
	v_cvt_i32_f32_e32 v12, v12
	v_exp_f32_e32 v10, v10
	v_cmp_ngt_f32_e32 vcc, s1, v9
	v_ldexp_f32 v10, v10, v12
	v_cndmask_b32_e32 v10, 0, v10, vcc
	v_cmp_nlt_f32_e32 vcc, s4, v9
	v_cndmask_b32_e32 v9, v8, v10, vcc
	v_add_f32_e32 v7, v7, v9
	s_cbranch_scc1 .LBB0_5
; %bb.6:
	v_mov_b32_e32 v4, s3
	v_add_co_u32_e32 v2, vcc, s2, v2
	v_addc_co_u32_e32 v3, vcc, v4, v3, vcc
	s_mov_b32 s0, 0x3fb8aa3b
	s_mov_b32 s1, 0xc2ce8ed0
	s_mov_b32 s2, 0x42b17218
	v_mov_b32_e32 v4, 0x7f800000
.LBB0_7:                                ; =>This Inner Loop Header: Depth=1
	global_load_dword v5, v[0:1], off
	s_add_i32 s9, s9, -1
	s_cmp_lg_u32 s9, 0
	s_waitcnt vmcnt(0)
	v_sub_f32_e32 v5, v5, v6
	v_mul_f32_e32 v8, 0x3fb8aa3b, v5
	v_fma_f32 v9, v5, s0, -v8
	v_rndne_f32_e32 v10, v8
	v_fmac_f32_e32 v9, 0x32a5705f, v5
	v_sub_f32_e32 v8, v8, v10
	v_add_f32_e32 v8, v8, v9
	v_cvt_i32_f32_e32 v10, v10
	v_exp_f32_e32 v8, v8
	v_cmp_ngt_f32_e32 vcc, s1, v5
	v_ldexp_f32 v8, v8, v10
	v_cndmask_b32_e32 v8, 0, v8, vcc
	v_cmp_nlt_f32_e32 vcc, s2, v5
	v_cndmask_b32_e32 v5, v4, v8, vcc
	v_div_scale_f32 v8, s[4:5], v7, v7, v5
	v_div_scale_f32 v9, vcc, v5, v7, v5
	v_rcp_f32_e32 v10, v8
	v_fma_f32 v11, -v8, v10, 1.0
	v_fmac_f32_e32 v10, v11, v10
	v_mul_f32_e32 v11, v9, v10
	v_fma_f32 v12, -v8, v11, v9
	v_fmac_f32_e32 v11, v12, v10
	v_fma_f32 v8, -v8, v11, v9
	v_div_fmas_f32 v8, v8, v10, v11
	v_add_co_u32_e32 v0, vcc, 4, v0
	v_addc_co_u32_e32 v1, vcc, 0, v1, vcc
	v_div_fixup_f32 v5, v8, v7, v5
	global_store_dword v[2:3], v5, off
	v_add_co_u32_e32 v2, vcc, 4, v2
	v_addc_co_u32_e32 v3, vcc, 0, v3, vcc
	s_cbranch_scc1 .LBB0_7
.LBB0_8:
	s_endpgm
	.section	.rodata,"a",@progbits
	.p2align	6, 0x0
	.amdhsa_kernel _Z7softMaxiiPKfPf
		.amdhsa_group_segment_fixed_size 0
		.amdhsa_private_segment_fixed_size 0
		.amdhsa_kernarg_size 280
		.amdhsa_user_sgpr_count 6
		.amdhsa_user_sgpr_private_segment_buffer 1
		.amdhsa_user_sgpr_dispatch_ptr 0
		.amdhsa_user_sgpr_queue_ptr 0
		.amdhsa_user_sgpr_kernarg_segment_ptr 1
		.amdhsa_user_sgpr_dispatch_id 0
		.amdhsa_user_sgpr_flat_scratch_init 0
		.amdhsa_user_sgpr_private_segment_size 0
		.amdhsa_uses_dynamic_stack 0
		.amdhsa_system_sgpr_private_segment_wavefront_offset 0
		.amdhsa_system_sgpr_workgroup_id_x 1
		.amdhsa_system_sgpr_workgroup_id_y 0
		.amdhsa_system_sgpr_workgroup_id_z 0
		.amdhsa_system_sgpr_workgroup_info 0
		.amdhsa_system_vgpr_workitem_id 0
		.amdhsa_next_free_vgpr 13
		.amdhsa_next_free_sgpr 10
		.amdhsa_reserve_vcc 1
		.amdhsa_reserve_flat_scratch 0
		.amdhsa_float_round_mode_32 0
		.amdhsa_float_round_mode_16_64 0
		.amdhsa_float_denorm_mode_32 3
		.amdhsa_float_denorm_mode_16_64 3
		.amdhsa_dx10_clamp 1
		.amdhsa_ieee_mode 1
		.amdhsa_fp16_overflow 0
		.amdhsa_exception_fp_ieee_invalid_op 0
		.amdhsa_exception_fp_denorm_src 0
		.amdhsa_exception_fp_ieee_div_zero 0
		.amdhsa_exception_fp_ieee_overflow 0
		.amdhsa_exception_fp_ieee_underflow 0
		.amdhsa_exception_fp_ieee_inexact 0
		.amdhsa_exception_int_div_zero 0
	.end_amdhsa_kernel
	.text
.Lfunc_end0:
	.size	_Z7softMaxiiPKfPf, .Lfunc_end0-_Z7softMaxiiPKfPf
                                        ; -- End function
	.set _Z7softMaxiiPKfPf.num_vgpr, 13
	.set _Z7softMaxiiPKfPf.num_agpr, 0
	.set _Z7softMaxiiPKfPf.numbered_sgpr, 10
	.set _Z7softMaxiiPKfPf.num_named_barrier, 0
	.set _Z7softMaxiiPKfPf.private_seg_size, 0
	.set _Z7softMaxiiPKfPf.uses_vcc, 1
	.set _Z7softMaxiiPKfPf.uses_flat_scratch, 0
	.set _Z7softMaxiiPKfPf.has_dyn_sized_stack, 0
	.set _Z7softMaxiiPKfPf.has_recursion, 0
	.set _Z7softMaxiiPKfPf.has_indirect_call, 0
	.section	.AMDGPU.csdata,"",@progbits
; Kernel info:
; codeLenInByte = 564
; TotalNumSgprs: 14
; NumVgprs: 13
; ScratchSize: 0
; MemoryBound: 0
; FloatMode: 240
; IeeeMode: 1
; LDSByteSize: 0 bytes/workgroup (compile time only)
; SGPRBlocks: 1
; VGPRBlocks: 3
; NumSGPRsForWavesPerEU: 14
; NumVGPRsForWavesPerEU: 13
; Occupancy: 10
; WaveLimiterHint : 0
; COMPUTE_PGM_RSRC2:SCRATCH_EN: 0
; COMPUTE_PGM_RSRC2:USER_SGPR: 6
; COMPUTE_PGM_RSRC2:TRAP_HANDLER: 0
; COMPUTE_PGM_RSRC2:TGID_X_EN: 1
; COMPUTE_PGM_RSRC2:TGID_Y_EN: 0
; COMPUTE_PGM_RSRC2:TGID_Z_EN: 0
; COMPUTE_PGM_RSRC2:TIDIG_COMP_CNT: 0
	.text
	.protected	_Z8softMax2iiPKfPf      ; -- Begin function _Z8softMax2iiPKfPf
	.globl	_Z8softMax2iiPKfPf
	.p2align	8
	.type	_Z8softMax2iiPKfPf,@function
_Z8softMax2iiPKfPf:                     ; @_Z8softMax2iiPKfPf
; %bb.0:
	s_load_dwordx2 s[12:13], s[4:5], 0x24
	s_load_dwordx2 s[2:3], s[4:5], 0x0
	s_waitcnt lgkmcnt(0)
	s_lshr_b32 s7, s12, 16
	s_and_b32 s8, s12, 0xffff
	v_mad_u32_u24 v8, v2, s7, v1
	v_mad_u64_u32 v[4:5], s[0:1], v8, s8, v[0:1]
	s_and_b32 s0, s13, 0xffff
	s_mul_i32 s1, s7, s8
	s_mul_i32 s0, s1, s0
	s_add_i32 s0, s0, 63
	s_lshr_b32 s0, s0, 6
	v_lshrrev_b32_e32 v1, 6, v4
	s_mul_i32 s0, s0, s6
	v_add_u32_e32 v1, s0, v1
	v_cmp_gt_i32_e32 vcc, s2, v1
	s_and_saveexec_b64 s[0:1], vcc
	s_cbranch_execz .LBB1_12
; %bb.1:
	v_mul_lo_u32 v1, v1, s3
	s_load_dwordx4 s[8:11], s[4:5], 0x8
	v_mad_legacy_u16 v0, s12, v8, v0
	v_ashrrev_i32_e32 v2, 31, v1
	v_lshlrev_b64 v[2:3], 2, v[1:2]
	s_waitcnt lgkmcnt(0)
	v_mov_b32_e32 v6, s9
	v_add_co_u32_e32 v5, vcc, s8, v2
	v_addc_co_u32_e32 v6, vcc, v6, v3, vcc
	global_load_dword v7, v[5:6], off
	v_and_b32_e32 v6, 63, v4
	v_cmp_gt_i32_e64 s[0:1], s3, v6
	s_and_saveexec_b64 s[4:5], s[0:1]
	s_cbranch_execz .LBB1_5
; %bb.2:
	v_and_b32_e32 v4, 63, v0
	v_lshlrev_b32_e32 v4, 2, v4
	v_add_co_u32_e32 v4, vcc, v2, v4
	v_addc_co_u32_e32 v5, vcc, 0, v3, vcc
	v_mov_b32_e32 v8, s9
	v_add_co_u32_e32 v4, vcc, s8, v4
	v_addc_co_u32_e32 v5, vcc, v8, v5, vcc
	s_mov_b64 s[6:7], 0
	v_mov_b32_e32 v8, v6
.LBB1_3:                                ; =>This Inner Loop Header: Depth=1
	global_load_dword v9, v[4:5], off
	v_add_co_u32_e32 v4, vcc, 0x100, v4
	v_add_u32_e32 v8, 64, v8
	v_addc_co_u32_e32 v5, vcc, 0, v5, vcc
	s_waitcnt vmcnt(1)
	v_max_f32_e32 v7, v7, v7
	v_cmp_le_i32_e32 vcc, s3, v8
	s_or_b64 s[6:7], vcc, s[6:7]
	s_waitcnt vmcnt(0)
	v_max_f32_e32 v9, v9, v9
	v_max_f32_e32 v7, v7, v9
	s_andn2_b64 exec, exec, s[6:7]
	s_cbranch_execnz .LBB1_3
; %bb.4:
	s_or_b64 exec, exec, s[6:7]
.LBB1_5:
	s_or_b64 exec, exec, s[4:5]
	v_mbcnt_lo_u32_b32 v4, -1, 0
	v_mbcnt_hi_u32_b32 v4, -1, v4
	v_and_b32_e32 v5, 64, v4
	v_add_u32_e32 v5, 64, v5
	v_xor_b32_e32 v8, 32, v4
	v_cmp_lt_i32_e32 vcc, v8, v5
	v_cndmask_b32_e32 v8, v4, v8, vcc
	v_lshlrev_b32_e32 v8, 2, v8
	s_waitcnt vmcnt(0)
	ds_bpermute_b32 v9, v8, v7
	v_xor_b32_e32 v10, 16, v4
	v_max_f32_e32 v7, v7, v7
	v_cmp_lt_i32_e32 vcc, v10, v5
	v_xor_b32_e32 v11, 8, v4
	s_waitcnt lgkmcnt(0)
	v_max_f32_e32 v9, v9, v9
	v_max_f32_e32 v7, v7, v9
	v_cndmask_b32_e32 v9, v4, v10, vcc
	v_lshlrev_b32_e32 v9, 2, v9
	ds_bpermute_b32 v10, v9, v7
	v_cmp_lt_i32_e32 vcc, v11, v5
	v_xor_b32_e32 v12, 4, v4
	v_xor_b32_e32 v13, 2, v4
	v_xor_b32_e32 v14, 1, v4
	s_waitcnt lgkmcnt(0)
	v_max_f32_e32 v10, v10, v10
	v_max_f32_e32 v7, v7, v10
	v_cndmask_b32_e32 v10, v4, v11, vcc
	v_lshlrev_b32_e32 v10, 2, v10
	ds_bpermute_b32 v11, v10, v7
	v_cmp_lt_i32_e32 vcc, v12, v5
	s_waitcnt lgkmcnt(0)
	v_max_f32_e32 v11, v11, v11
	v_max_f32_e32 v7, v7, v11
	v_cndmask_b32_e32 v11, v4, v12, vcc
	v_lshlrev_b32_e32 v11, 2, v11
	ds_bpermute_b32 v12, v11, v7
	v_cmp_lt_i32_e32 vcc, v13, v5
	;; [unrolled: 7-line block ×3, first 2 shown]
	v_cndmask_b32_e32 v4, v4, v14, vcc
	v_mov_b32_e32 v14, 0
	s_waitcnt lgkmcnt(0)
	v_max_f32_e32 v13, v13, v13
	v_max_f32_e32 v7, v7, v13
	v_lshlrev_b32_e32 v13, 2, v4
	ds_bpermute_b32 v4, v13, v7
	s_waitcnt lgkmcnt(0)
	v_max_f32_e32 v4, v4, v4
	v_max_f32_e32 v7, v7, v4
	s_and_saveexec_b64 s[4:5], s[0:1]
	s_cbranch_execz .LBB1_9
; %bb.6:
	v_and_b32_e32 v4, 63, v0
	v_lshlrev_b32_e32 v4, 2, v4
	v_add_co_u32_e32 v4, vcc, v2, v4
	v_addc_co_u32_e32 v5, vcc, 0, v3, vcc
	v_mov_b32_e32 v15, s9
	v_add_co_u32_e32 v4, vcc, s8, v4
	v_mov_b32_e32 v14, 0
	v_addc_co_u32_e32 v5, vcc, v15, v5, vcc
	s_mov_b64 s[6:7], 0
	s_mov_b32 s2, 0x3fb8aa3b
	s_mov_b32 s12, 0xc2ce8ed0
	;; [unrolled: 1-line block ×3, first 2 shown]
	v_mov_b32_e32 v15, 0x7f800000
	v_mov_b32_e32 v16, v6
.LBB1_7:                                ; =>This Inner Loop Header: Depth=1
	global_load_dword v17, v[4:5], off
	v_add_co_u32_e32 v4, vcc, 0x100, v4
	v_add_u32_e32 v16, 64, v16
	v_addc_co_u32_e32 v5, vcc, 0, v5, vcc
	v_cmp_le_i32_e32 vcc, s3, v16
	s_or_b64 s[6:7], vcc, s[6:7]
	s_waitcnt vmcnt(0)
	v_sub_f32_e32 v17, v17, v7
	v_mul_f32_e32 v18, 0x3fb8aa3b, v17
	v_fma_f32 v19, v17, s2, -v18
	v_rndne_f32_e32 v20, v18
	v_fmac_f32_e32 v19, 0x32a5705f, v17
	v_sub_f32_e32 v18, v18, v20
	v_add_f32_e32 v18, v18, v19
	v_cvt_i32_f32_e32 v20, v20
	v_exp_f32_e32 v18, v18
	v_cmp_ngt_f32_e32 vcc, s12, v17
	v_ldexp_f32 v18, v18, v20
	v_cndmask_b32_e32 v18, 0, v18, vcc
	v_cmp_nlt_f32_e32 vcc, s13, v17
	v_cndmask_b32_e32 v17, v15, v18, vcc
	v_add_f32_e32 v14, v14, v17
	s_andn2_b64 exec, exec, s[6:7]
	s_cbranch_execnz .LBB1_7
; %bb.8:
	s_or_b64 exec, exec, s[6:7]
.LBB1_9:
	s_or_b64 exec, exec, s[4:5]
	ds_bpermute_b32 v4, v8, v14
	s_waitcnt lgkmcnt(0)
	v_add_f32_e32 v4, v14, v4
	ds_bpermute_b32 v5, v9, v4
	s_waitcnt lgkmcnt(0)
	v_add_f32_e32 v4, v4, v5
	ds_bpermute_b32 v5, v10, v4
	s_waitcnt lgkmcnt(0)
	v_add_f32_e32 v4, v4, v5
	ds_bpermute_b32 v5, v11, v4
	s_waitcnt lgkmcnt(0)
	v_add_f32_e32 v4, v4, v5
	ds_bpermute_b32 v5, v12, v4
	s_waitcnt lgkmcnt(0)
	v_add_f32_e32 v4, v4, v5
	ds_bpermute_b32 v5, v13, v4
	s_and_b64 exec, exec, s[0:1]
	s_cbranch_execz .LBB1_12
; %bb.10:
	v_and_b32_e32 v0, 63, v0
	v_lshlrev_b32_e32 v0, 2, v0
	v_add_co_u32_e32 v0, vcc, v2, v0
	v_addc_co_u32_e32 v3, vcc, 0, v3, vcc
	v_add_co_u32_e32 v2, vcc, s8, v0
	v_add_u32_e32 v0, v1, v6
	v_ashrrev_i32_e32 v1, 31, v0
	s_waitcnt lgkmcnt(0)
	v_add_f32_e32 v4, v4, v5
	v_mov_b32_e32 v5, s9
	v_lshlrev_b64 v[0:1], 2, v[0:1]
	v_addc_co_u32_e32 v3, vcc, v5, v3, vcc
	v_mov_b32_e32 v5, s11
	v_add_co_u32_e32 v0, vcc, s10, v0
	v_addc_co_u32_e32 v1, vcc, v5, v1, vcc
	s_mov_b64 s[0:1], 0
	s_mov_b32 s2, 0x3fb8aa3b
	s_mov_b32 s4, 0xc2ce8ed0
	;; [unrolled: 1-line block ×3, first 2 shown]
	v_mov_b32_e32 v5, 0x7f800000
.LBB1_11:                               ; =>This Inner Loop Header: Depth=1
	global_load_dword v8, v[2:3], off
	v_add_u32_e32 v6, 64, v6
	s_waitcnt vmcnt(0)
	v_sub_f32_e32 v8, v8, v7
	v_mul_f32_e32 v9, 0x3fb8aa3b, v8
	v_fma_f32 v10, v8, s2, -v9
	v_rndne_f32_e32 v11, v9
	v_fmac_f32_e32 v10, 0x32a5705f, v8
	v_sub_f32_e32 v9, v9, v11
	v_add_f32_e32 v9, v9, v10
	v_cvt_i32_f32_e32 v11, v11
	v_exp_f32_e32 v9, v9
	v_cmp_ngt_f32_e32 vcc, s4, v8
	v_ldexp_f32 v9, v9, v11
	v_cndmask_b32_e32 v9, 0, v9, vcc
	v_cmp_nlt_f32_e32 vcc, s5, v8
	v_cndmask_b32_e32 v8, v5, v9, vcc
	v_div_scale_f32 v9, s[6:7], v4, v4, v8
	v_div_scale_f32 v10, vcc, v8, v4, v8
	v_rcp_f32_e32 v11, v9
	v_fma_f32 v12, -v9, v11, 1.0
	v_fmac_f32_e32 v11, v12, v11
	v_mul_f32_e32 v12, v10, v11
	v_fma_f32 v13, -v9, v12, v10
	v_fmac_f32_e32 v12, v13, v11
	v_fma_f32 v9, -v9, v12, v10
	v_div_fmas_f32 v9, v9, v11, v12
	v_cmp_le_i32_e32 vcc, s3, v6
	s_or_b64 s[0:1], vcc, s[0:1]
	v_add_co_u32_e32 v2, vcc, 0x100, v2
	v_addc_co_u32_e32 v3, vcc, 0, v3, vcc
	v_div_fixup_f32 v8, v9, v4, v8
	global_store_dword v[0:1], v8, off
	v_add_co_u32_e32 v0, vcc, 0x100, v0
	v_addc_co_u32_e32 v1, vcc, 0, v1, vcc
	s_andn2_b64 exec, exec, s[0:1]
	s_cbranch_execnz .LBB1_11
.LBB1_12:
	s_endpgm
	.section	.rodata,"a",@progbits
	.p2align	6, 0x0
	.amdhsa_kernel _Z8softMax2iiPKfPf
		.amdhsa_group_segment_fixed_size 0
		.amdhsa_private_segment_fixed_size 0
		.amdhsa_kernarg_size 280
		.amdhsa_user_sgpr_count 6
		.amdhsa_user_sgpr_private_segment_buffer 1
		.amdhsa_user_sgpr_dispatch_ptr 0
		.amdhsa_user_sgpr_queue_ptr 0
		.amdhsa_user_sgpr_kernarg_segment_ptr 1
		.amdhsa_user_sgpr_dispatch_id 0
		.amdhsa_user_sgpr_flat_scratch_init 0
		.amdhsa_user_sgpr_private_segment_size 0
		.amdhsa_uses_dynamic_stack 0
		.amdhsa_system_sgpr_private_segment_wavefront_offset 0
		.amdhsa_system_sgpr_workgroup_id_x 1
		.amdhsa_system_sgpr_workgroup_id_y 0
		.amdhsa_system_sgpr_workgroup_id_z 0
		.amdhsa_system_sgpr_workgroup_info 0
		.amdhsa_system_vgpr_workitem_id 2
		.amdhsa_next_free_vgpr 21
		.amdhsa_next_free_sgpr 14
		.amdhsa_reserve_vcc 1
		.amdhsa_reserve_flat_scratch 0
		.amdhsa_float_round_mode_32 0
		.amdhsa_float_round_mode_16_64 0
		.amdhsa_float_denorm_mode_32 3
		.amdhsa_float_denorm_mode_16_64 3
		.amdhsa_dx10_clamp 1
		.amdhsa_ieee_mode 1
		.amdhsa_fp16_overflow 0
		.amdhsa_exception_fp_ieee_invalid_op 0
		.amdhsa_exception_fp_denorm_src 0
		.amdhsa_exception_fp_ieee_div_zero 0
		.amdhsa_exception_fp_ieee_overflow 0
		.amdhsa_exception_fp_ieee_underflow 0
		.amdhsa_exception_fp_ieee_inexact 0
		.amdhsa_exception_int_div_zero 0
	.end_amdhsa_kernel
	.text
.Lfunc_end1:
	.size	_Z8softMax2iiPKfPf, .Lfunc_end1-_Z8softMax2iiPKfPf
                                        ; -- End function
	.set _Z8softMax2iiPKfPf.num_vgpr, 21
	.set _Z8softMax2iiPKfPf.num_agpr, 0
	.set _Z8softMax2iiPKfPf.numbered_sgpr, 14
	.set _Z8softMax2iiPKfPf.num_named_barrier, 0
	.set _Z8softMax2iiPKfPf.private_seg_size, 0
	.set _Z8softMax2iiPKfPf.uses_vcc, 1
	.set _Z8softMax2iiPKfPf.uses_flat_scratch, 0
	.set _Z8softMax2iiPKfPf.has_dyn_sized_stack, 0
	.set _Z8softMax2iiPKfPf.has_recursion, 0
	.set _Z8softMax2iiPKfPf.has_indirect_call, 0
	.section	.AMDGPU.csdata,"",@progbits
; Kernel info:
; codeLenInByte = 1148
; TotalNumSgprs: 18
; NumVgprs: 21
; ScratchSize: 0
; MemoryBound: 0
; FloatMode: 240
; IeeeMode: 1
; LDSByteSize: 0 bytes/workgroup (compile time only)
; SGPRBlocks: 2
; VGPRBlocks: 5
; NumSGPRsForWavesPerEU: 18
; NumVGPRsForWavesPerEU: 21
; Occupancy: 10
; WaveLimiterHint : 0
; COMPUTE_PGM_RSRC2:SCRATCH_EN: 0
; COMPUTE_PGM_RSRC2:USER_SGPR: 6
; COMPUTE_PGM_RSRC2:TRAP_HANDLER: 0
; COMPUTE_PGM_RSRC2:TGID_X_EN: 1
; COMPUTE_PGM_RSRC2:TGID_Y_EN: 0
; COMPUTE_PGM_RSRC2:TGID_Z_EN: 0
; COMPUTE_PGM_RSRC2:TIDIG_COMP_CNT: 2
	.section	.AMDGPU.gpr_maximums,"",@progbits
	.set amdgpu.max_num_vgpr, 0
	.set amdgpu.max_num_agpr, 0
	.set amdgpu.max_num_sgpr, 0
	.section	.AMDGPU.csdata,"",@progbits
	.type	__hip_cuid_a1d140f7b810d5ee,@object ; @__hip_cuid_a1d140f7b810d5ee
	.section	.bss,"aw",@nobits
	.globl	__hip_cuid_a1d140f7b810d5ee
__hip_cuid_a1d140f7b810d5ee:
	.byte	0                               ; 0x0
	.size	__hip_cuid_a1d140f7b810d5ee, 1

	.ident	"AMD clang version 22.0.0git (https://github.com/RadeonOpenCompute/llvm-project roc-7.2.4 26084 f58b06dce1f9c15707c5f808fd002e18c2accf7e)"
	.section	".note.GNU-stack","",@progbits
	.addrsig
	.addrsig_sym __hip_cuid_a1d140f7b810d5ee
	.amdgpu_metadata
---
amdhsa.kernels:
  - .args:
      - .offset:         0
        .size:           4
        .value_kind:     by_value
      - .offset:         4
        .size:           4
        .value_kind:     by_value
      - .address_space:  global
        .offset:         8
        .size:           8
        .value_kind:     global_buffer
      - .address_space:  global
        .offset:         16
        .size:           8
        .value_kind:     global_buffer
      - .offset:         24
        .size:           4
        .value_kind:     hidden_block_count_x
      - .offset:         28
        .size:           4
        .value_kind:     hidden_block_count_y
      - .offset:         32
        .size:           4
        .value_kind:     hidden_block_count_z
      - .offset:         36
        .size:           2
        .value_kind:     hidden_group_size_x
      - .offset:         38
        .size:           2
        .value_kind:     hidden_group_size_y
      - .offset:         40
        .size:           2
        .value_kind:     hidden_group_size_z
      - .offset:         42
        .size:           2
        .value_kind:     hidden_remainder_x
      - .offset:         44
        .size:           2
        .value_kind:     hidden_remainder_y
      - .offset:         46
        .size:           2
        .value_kind:     hidden_remainder_z
      - .offset:         64
        .size:           8
        .value_kind:     hidden_global_offset_x
      - .offset:         72
        .size:           8
        .value_kind:     hidden_global_offset_y
      - .offset:         80
        .size:           8
        .value_kind:     hidden_global_offset_z
      - .offset:         88
        .size:           2
        .value_kind:     hidden_grid_dims
    .group_segment_fixed_size: 0
    .kernarg_segment_align: 8
    .kernarg_segment_size: 280
    .language:       OpenCL C
    .language_version:
      - 2
      - 0
    .max_flat_workgroup_size: 1024
    .name:           _Z7softMaxiiPKfPf
    .private_segment_fixed_size: 0
    .sgpr_count:     14
    .sgpr_spill_count: 0
    .symbol:         _Z7softMaxiiPKfPf.kd
    .uniform_work_group_size: 1
    .uses_dynamic_stack: false
    .vgpr_count:     13
    .vgpr_spill_count: 0
    .wavefront_size: 64
  - .args:
      - .offset:         0
        .size:           4
        .value_kind:     by_value
      - .offset:         4
        .size:           4
        .value_kind:     by_value
      - .address_space:  global
        .offset:         8
        .size:           8
        .value_kind:     global_buffer
      - .address_space:  global
        .offset:         16
        .size:           8
        .value_kind:     global_buffer
      - .offset:         24
        .size:           4
        .value_kind:     hidden_block_count_x
      - .offset:         28
        .size:           4
        .value_kind:     hidden_block_count_y
      - .offset:         32
        .size:           4
        .value_kind:     hidden_block_count_z
      - .offset:         36
        .size:           2
        .value_kind:     hidden_group_size_x
      - .offset:         38
        .size:           2
        .value_kind:     hidden_group_size_y
      - .offset:         40
        .size:           2
        .value_kind:     hidden_group_size_z
      - .offset:         42
        .size:           2
        .value_kind:     hidden_remainder_x
      - .offset:         44
        .size:           2
        .value_kind:     hidden_remainder_y
      - .offset:         46
        .size:           2
        .value_kind:     hidden_remainder_z
      - .offset:         64
        .size:           8
        .value_kind:     hidden_global_offset_x
      - .offset:         72
        .size:           8
        .value_kind:     hidden_global_offset_y
      - .offset:         80
        .size:           8
        .value_kind:     hidden_global_offset_z
      - .offset:         88
        .size:           2
        .value_kind:     hidden_grid_dims
    .group_segment_fixed_size: 0
    .kernarg_segment_align: 8
    .kernarg_segment_size: 280
    .language:       OpenCL C
    .language_version:
      - 2
      - 0
    .max_flat_workgroup_size: 1024
    .name:           _Z8softMax2iiPKfPf
    .private_segment_fixed_size: 0
    .sgpr_count:     18
    .sgpr_spill_count: 0
    .symbol:         _Z8softMax2iiPKfPf.kd
    .uniform_work_group_size: 1
    .uses_dynamic_stack: false
    .vgpr_count:     21
    .vgpr_spill_count: 0
    .wavefront_size: 64
amdhsa.target:   amdgcn-amd-amdhsa--gfx906
amdhsa.version:
  - 1
  - 2
...

	.end_amdgpu_metadata
